;; amdgpu-corpus repo=ROCm/rocFFT kind=compiled arch=gfx1100 opt=O3
	.text
	.amdgcn_target "amdgcn-amd-amdhsa--gfx1100"
	.amdhsa_code_object_version 6
	.protected	fft_rtc_back_len1715_factors_5_7_7_7_wgs_245_tpt_245_halfLds_dp_op_CI_CI_unitstride_sbrr_dirReg ; -- Begin function fft_rtc_back_len1715_factors_5_7_7_7_wgs_245_tpt_245_halfLds_dp_op_CI_CI_unitstride_sbrr_dirReg
	.globl	fft_rtc_back_len1715_factors_5_7_7_7_wgs_245_tpt_245_halfLds_dp_op_CI_CI_unitstride_sbrr_dirReg
	.p2align	8
	.type	fft_rtc_back_len1715_factors_5_7_7_7_wgs_245_tpt_245_halfLds_dp_op_CI_CI_unitstride_sbrr_dirReg,@function
fft_rtc_back_len1715_factors_5_7_7_7_wgs_245_tpt_245_halfLds_dp_op_CI_CI_unitstride_sbrr_dirReg: ; @fft_rtc_back_len1715_factors_5_7_7_7_wgs_245_tpt_245_halfLds_dp_op_CI_CI_unitstride_sbrr_dirReg
; %bb.0:
	s_clause 0x2
	s_load_b128 s[8:11], s[0:1], 0x0
	s_load_b128 s[4:7], s[0:1], 0x58
	;; [unrolled: 1-line block ×3, first 2 shown]
	v_mul_u32_u24_e32 v1, 0x10c, v0
	v_mov_b32_e32 v4, 0
	v_mov_b32_e32 v5, 0
	s_delay_alu instid0(VALU_DEP_3) | instskip(NEXT) | instid1(VALU_DEP_1)
	v_lshrrev_b32_e32 v2, 16, v1
	v_dual_mov_b32 v1, 0 :: v_dual_add_nc_u32 v6, s15, v2
	s_delay_alu instid0(VALU_DEP_1) | instskip(SKIP_2) | instid1(VALU_DEP_1)
	v_mov_b32_e32 v7, v1
	s_waitcnt lgkmcnt(0)
	v_cmp_lt_u64_e64 s2, s[10:11], 2
	s_and_b32 vcc_lo, exec_lo, s2
	s_cbranch_vccnz .LBB0_8
; %bb.1:
	s_load_b64 s[2:3], s[0:1], 0x10
	v_mov_b32_e32 v4, 0
	v_mov_b32_e32 v5, 0
	s_add_u32 s12, s18, 8
	s_addc_u32 s13, s19, 0
	s_add_u32 s14, s16, 8
	s_addc_u32 s15, s17, 0
	v_dual_mov_b32 v41, v5 :: v_dual_mov_b32 v40, v4
	s_mov_b64 s[22:23], 1
	s_waitcnt lgkmcnt(0)
	s_add_u32 s20, s2, 8
	s_addc_u32 s21, s3, 0
.LBB0_2:                                ; =>This Inner Loop Header: Depth=1
	s_load_b64 s[24:25], s[20:21], 0x0
                                        ; implicit-def: $vgpr42_vgpr43
	s_mov_b32 s2, exec_lo
	s_waitcnt lgkmcnt(0)
	v_or_b32_e32 v2, s25, v7
	s_delay_alu instid0(VALU_DEP_1)
	v_cmpx_ne_u64_e32 0, v[1:2]
	s_xor_b32 s3, exec_lo, s2
	s_cbranch_execz .LBB0_4
; %bb.3:                                ;   in Loop: Header=BB0_2 Depth=1
	v_cvt_f32_u32_e32 v2, s24
	v_cvt_f32_u32_e32 v3, s25
	s_sub_u32 s2, 0, s24
	s_subb_u32 s26, 0, s25
	s_delay_alu instid0(VALU_DEP_1) | instskip(NEXT) | instid1(VALU_DEP_1)
	v_fmac_f32_e32 v2, 0x4f800000, v3
	v_rcp_f32_e32 v2, v2
	s_waitcnt_depctr 0xfff
	v_mul_f32_e32 v2, 0x5f7ffffc, v2
	s_delay_alu instid0(VALU_DEP_1) | instskip(NEXT) | instid1(VALU_DEP_1)
	v_mul_f32_e32 v3, 0x2f800000, v2
	v_trunc_f32_e32 v3, v3
	s_delay_alu instid0(VALU_DEP_1) | instskip(SKIP_1) | instid1(VALU_DEP_2)
	v_fmac_f32_e32 v2, 0xcf800000, v3
	v_cvt_u32_f32_e32 v3, v3
	v_cvt_u32_f32_e32 v2, v2
	s_delay_alu instid0(VALU_DEP_2) | instskip(NEXT) | instid1(VALU_DEP_2)
	v_mul_lo_u32 v8, s2, v3
	v_mul_hi_u32 v9, s2, v2
	v_mul_lo_u32 v10, s26, v2
	s_delay_alu instid0(VALU_DEP_2) | instskip(SKIP_1) | instid1(VALU_DEP_2)
	v_add_nc_u32_e32 v8, v9, v8
	v_mul_lo_u32 v9, s2, v2
	v_add_nc_u32_e32 v8, v8, v10
	s_delay_alu instid0(VALU_DEP_2) | instskip(NEXT) | instid1(VALU_DEP_2)
	v_mul_hi_u32 v10, v2, v9
	v_mul_lo_u32 v11, v2, v8
	v_mul_hi_u32 v12, v2, v8
	v_mul_hi_u32 v13, v3, v9
	v_mul_lo_u32 v9, v3, v9
	v_mul_hi_u32 v14, v3, v8
	v_mul_lo_u32 v8, v3, v8
	v_add_co_u32 v10, vcc_lo, v10, v11
	v_add_co_ci_u32_e32 v11, vcc_lo, 0, v12, vcc_lo
	s_delay_alu instid0(VALU_DEP_2) | instskip(NEXT) | instid1(VALU_DEP_2)
	v_add_co_u32 v9, vcc_lo, v10, v9
	v_add_co_ci_u32_e32 v9, vcc_lo, v11, v13, vcc_lo
	v_add_co_ci_u32_e32 v10, vcc_lo, 0, v14, vcc_lo
	s_delay_alu instid0(VALU_DEP_2) | instskip(NEXT) | instid1(VALU_DEP_2)
	v_add_co_u32 v8, vcc_lo, v9, v8
	v_add_co_ci_u32_e32 v9, vcc_lo, 0, v10, vcc_lo
	s_delay_alu instid0(VALU_DEP_2) | instskip(NEXT) | instid1(VALU_DEP_2)
	v_add_co_u32 v2, vcc_lo, v2, v8
	v_add_co_ci_u32_e32 v3, vcc_lo, v3, v9, vcc_lo
	s_delay_alu instid0(VALU_DEP_2) | instskip(SKIP_1) | instid1(VALU_DEP_3)
	v_mul_hi_u32 v8, s2, v2
	v_mul_lo_u32 v10, s26, v2
	v_mul_lo_u32 v9, s2, v3
	s_delay_alu instid0(VALU_DEP_1) | instskip(SKIP_1) | instid1(VALU_DEP_2)
	v_add_nc_u32_e32 v8, v8, v9
	v_mul_lo_u32 v9, s2, v2
	v_add_nc_u32_e32 v8, v8, v10
	s_delay_alu instid0(VALU_DEP_2) | instskip(NEXT) | instid1(VALU_DEP_2)
	v_mul_hi_u32 v10, v2, v9
	v_mul_lo_u32 v11, v2, v8
	v_mul_hi_u32 v12, v2, v8
	v_mul_hi_u32 v13, v3, v9
	v_mul_lo_u32 v9, v3, v9
	v_mul_hi_u32 v14, v3, v8
	v_mul_lo_u32 v8, v3, v8
	v_add_co_u32 v10, vcc_lo, v10, v11
	v_add_co_ci_u32_e32 v11, vcc_lo, 0, v12, vcc_lo
	s_delay_alu instid0(VALU_DEP_2) | instskip(NEXT) | instid1(VALU_DEP_2)
	v_add_co_u32 v9, vcc_lo, v10, v9
	v_add_co_ci_u32_e32 v9, vcc_lo, v11, v13, vcc_lo
	v_add_co_ci_u32_e32 v10, vcc_lo, 0, v14, vcc_lo
	s_delay_alu instid0(VALU_DEP_2) | instskip(NEXT) | instid1(VALU_DEP_2)
	v_add_co_u32 v8, vcc_lo, v9, v8
	v_add_co_ci_u32_e32 v9, vcc_lo, 0, v10, vcc_lo
	s_delay_alu instid0(VALU_DEP_2) | instskip(NEXT) | instid1(VALU_DEP_2)
	v_add_co_u32 v10, vcc_lo, v2, v8
	v_add_co_ci_u32_e32 v12, vcc_lo, v3, v9, vcc_lo
	s_delay_alu instid0(VALU_DEP_2) | instskip(SKIP_1) | instid1(VALU_DEP_3)
	v_mul_hi_u32 v13, v6, v10
	v_mad_u64_u32 v[8:9], null, v7, v10, 0
	v_mad_u64_u32 v[2:3], null, v6, v12, 0
	;; [unrolled: 1-line block ×3, first 2 shown]
	s_delay_alu instid0(VALU_DEP_2) | instskip(NEXT) | instid1(VALU_DEP_3)
	v_add_co_u32 v2, vcc_lo, v13, v2
	v_add_co_ci_u32_e32 v3, vcc_lo, 0, v3, vcc_lo
	s_delay_alu instid0(VALU_DEP_2) | instskip(NEXT) | instid1(VALU_DEP_2)
	v_add_co_u32 v2, vcc_lo, v2, v8
	v_add_co_ci_u32_e32 v2, vcc_lo, v3, v9, vcc_lo
	v_add_co_ci_u32_e32 v3, vcc_lo, 0, v11, vcc_lo
	s_delay_alu instid0(VALU_DEP_2) | instskip(NEXT) | instid1(VALU_DEP_2)
	v_add_co_u32 v8, vcc_lo, v2, v10
	v_add_co_ci_u32_e32 v9, vcc_lo, 0, v3, vcc_lo
	s_delay_alu instid0(VALU_DEP_2) | instskip(SKIP_1) | instid1(VALU_DEP_3)
	v_mul_lo_u32 v10, s25, v8
	v_mad_u64_u32 v[2:3], null, s24, v8, 0
	v_mul_lo_u32 v11, s24, v9
	s_delay_alu instid0(VALU_DEP_2) | instskip(NEXT) | instid1(VALU_DEP_2)
	v_sub_co_u32 v2, vcc_lo, v6, v2
	v_add3_u32 v3, v3, v11, v10
	s_delay_alu instid0(VALU_DEP_1) | instskip(NEXT) | instid1(VALU_DEP_1)
	v_sub_nc_u32_e32 v10, v7, v3
	v_subrev_co_ci_u32_e64 v10, s2, s25, v10, vcc_lo
	v_add_co_u32 v11, s2, v8, 2
	s_delay_alu instid0(VALU_DEP_1) | instskip(SKIP_3) | instid1(VALU_DEP_3)
	v_add_co_ci_u32_e64 v12, s2, 0, v9, s2
	v_sub_co_u32 v13, s2, v2, s24
	v_sub_co_ci_u32_e32 v3, vcc_lo, v7, v3, vcc_lo
	v_subrev_co_ci_u32_e64 v10, s2, 0, v10, s2
	v_cmp_le_u32_e32 vcc_lo, s24, v13
	s_delay_alu instid0(VALU_DEP_3) | instskip(SKIP_1) | instid1(VALU_DEP_4)
	v_cmp_eq_u32_e64 s2, s25, v3
	v_cndmask_b32_e64 v13, 0, -1, vcc_lo
	v_cmp_le_u32_e32 vcc_lo, s25, v10
	v_cndmask_b32_e64 v14, 0, -1, vcc_lo
	v_cmp_le_u32_e32 vcc_lo, s24, v2
	;; [unrolled: 2-line block ×3, first 2 shown]
	v_cndmask_b32_e64 v15, 0, -1, vcc_lo
	v_cmp_eq_u32_e32 vcc_lo, s25, v10
	s_delay_alu instid0(VALU_DEP_2) | instskip(SKIP_3) | instid1(VALU_DEP_3)
	v_cndmask_b32_e64 v2, v15, v2, s2
	v_cndmask_b32_e32 v10, v14, v13, vcc_lo
	v_add_co_u32 v13, vcc_lo, v8, 1
	v_add_co_ci_u32_e32 v14, vcc_lo, 0, v9, vcc_lo
	v_cmp_ne_u32_e32 vcc_lo, 0, v10
	s_delay_alu instid0(VALU_DEP_2) | instskip(SKIP_1) | instid1(VALU_DEP_2)
	v_dual_cndmask_b32 v3, v14, v12 :: v_dual_cndmask_b32 v10, v13, v11
	v_cmp_ne_u32_e32 vcc_lo, 0, v2
	v_dual_cndmask_b32 v43, v9, v3 :: v_dual_cndmask_b32 v42, v8, v10
.LBB0_4:                                ;   in Loop: Header=BB0_2 Depth=1
	s_and_not1_saveexec_b32 s2, s3
	s_cbranch_execz .LBB0_6
; %bb.5:                                ;   in Loop: Header=BB0_2 Depth=1
	v_cvt_f32_u32_e32 v2, s24
	s_sub_i32 s3, 0, s24
	v_mov_b32_e32 v43, v1
	s_delay_alu instid0(VALU_DEP_2) | instskip(SKIP_2) | instid1(VALU_DEP_1)
	v_rcp_iflag_f32_e32 v2, v2
	s_waitcnt_depctr 0xfff
	v_mul_f32_e32 v2, 0x4f7ffffe, v2
	v_cvt_u32_f32_e32 v2, v2
	s_delay_alu instid0(VALU_DEP_1) | instskip(NEXT) | instid1(VALU_DEP_1)
	v_mul_lo_u32 v3, s3, v2
	v_mul_hi_u32 v3, v2, v3
	s_delay_alu instid0(VALU_DEP_1) | instskip(NEXT) | instid1(VALU_DEP_1)
	v_add_nc_u32_e32 v2, v2, v3
	v_mul_hi_u32 v2, v6, v2
	s_delay_alu instid0(VALU_DEP_1) | instskip(SKIP_1) | instid1(VALU_DEP_2)
	v_mul_lo_u32 v3, v2, s24
	v_add_nc_u32_e32 v8, 1, v2
	v_sub_nc_u32_e32 v3, v6, v3
	s_delay_alu instid0(VALU_DEP_1) | instskip(SKIP_1) | instid1(VALU_DEP_2)
	v_subrev_nc_u32_e32 v9, s24, v3
	v_cmp_le_u32_e32 vcc_lo, s24, v3
	v_dual_cndmask_b32 v3, v3, v9 :: v_dual_cndmask_b32 v2, v2, v8
	s_delay_alu instid0(VALU_DEP_1) | instskip(NEXT) | instid1(VALU_DEP_2)
	v_cmp_le_u32_e32 vcc_lo, s24, v3
	v_add_nc_u32_e32 v8, 1, v2
	s_delay_alu instid0(VALU_DEP_1)
	v_cndmask_b32_e32 v42, v2, v8, vcc_lo
.LBB0_6:                                ;   in Loop: Header=BB0_2 Depth=1
	s_or_b32 exec_lo, exec_lo, s2
	s_delay_alu instid0(VALU_DEP_1) | instskip(NEXT) | instid1(VALU_DEP_2)
	v_mul_lo_u32 v8, v43, s24
	v_mul_lo_u32 v9, v42, s25
	s_load_b64 s[2:3], s[14:15], 0x0
	v_mad_u64_u32 v[2:3], null, v42, s24, 0
	s_load_b64 s[24:25], s[12:13], 0x0
	s_add_u32 s22, s22, 1
	s_addc_u32 s23, s23, 0
	s_add_u32 s12, s12, 8
	s_addc_u32 s13, s13, 0
	s_add_u32 s14, s14, 8
	s_delay_alu instid0(VALU_DEP_1) | instskip(SKIP_3) | instid1(VALU_DEP_2)
	v_add3_u32 v3, v3, v9, v8
	v_sub_co_u32 v8, vcc_lo, v6, v2
	s_addc_u32 s15, s15, 0
	s_add_u32 s20, s20, 8
	v_sub_co_ci_u32_e32 v6, vcc_lo, v7, v3, vcc_lo
	s_addc_u32 s21, s21, 0
	s_waitcnt lgkmcnt(0)
	s_delay_alu instid0(VALU_DEP_1)
	v_mul_lo_u32 v9, s2, v6
	v_mul_lo_u32 v10, s3, v8
	v_mad_u64_u32 v[2:3], null, s2, v8, v[4:5]
	v_mul_lo_u32 v11, s24, v6
	v_mul_lo_u32 v12, s25, v8
	v_mad_u64_u32 v[6:7], null, s24, v8, v[40:41]
	v_cmp_ge_u64_e64 s2, s[22:23], s[10:11]
	v_add3_u32 v5, v10, v3, v9
	v_mov_b32_e32 v4, v2
	s_delay_alu instid0(VALU_DEP_4)
	v_add3_u32 v41, v12, v7, v11
	v_mov_b32_e32 v40, v6
	s_and_b32 vcc_lo, exec_lo, s2
	s_cbranch_vccnz .LBB0_9
; %bb.7:                                ;   in Loop: Header=BB0_2 Depth=1
	v_dual_mov_b32 v6, v42 :: v_dual_mov_b32 v7, v43
	s_branch .LBB0_2
.LBB0_8:
	v_dual_mov_b32 v41, v5 :: v_dual_mov_b32 v40, v4
	v_dual_mov_b32 v43, v7 :: v_dual_mov_b32 v42, v6
.LBB0_9:
	s_load_b64 s[0:1], s[0:1], 0x28
	v_mul_hi_u32 v1, 0x10b7e6f, v0
	s_lshl_b64 s[10:11], s[10:11], 3
                                        ; implicit-def: $sgpr12
                                        ; implicit-def: $vgpr46
	s_delay_alu instid0(SALU_CYCLE_1) | instskip(SKIP_4) | instid1(VALU_DEP_1)
	s_add_u32 s2, s18, s10
	s_addc_u32 s3, s19, s11
	s_waitcnt lgkmcnt(0)
	v_cmp_gt_u64_e32 vcc_lo, s[0:1], v[42:43]
	v_cmp_le_u64_e64 s0, s[0:1], v[42:43]
	s_and_saveexec_b32 s1, s0
	s_delay_alu instid0(SALU_CYCLE_1)
	s_xor_b32 s0, exec_lo, s1
; %bb.10:
	v_mul_u32_u24_e32 v1, 0xf5, v1
	s_mov_b32 s12, 0
                                        ; implicit-def: $vgpr4_vgpr5
	s_delay_alu instid0(VALU_DEP_1)
	v_sub_nc_u32_e32 v46, v0, v1
                                        ; implicit-def: $vgpr1
                                        ; implicit-def: $vgpr0
; %bb.11:
	s_or_saveexec_b32 s1, s0
	s_load_b64 s[2:3], s[2:3], 0x0
	v_mov_b32_e32 v44, s12
                                        ; implicit-def: $vgpr2_vgpr3
                                        ; implicit-def: $vgpr6_vgpr7
                                        ; implicit-def: $vgpr10_vgpr11
                                        ; implicit-def: $vgpr14_vgpr15
                                        ; implicit-def: $vgpr18_vgpr19
                                        ; implicit-def: $vgpr22_vgpr23
                                        ; implicit-def: $vgpr26_vgpr27
                                        ; implicit-def: $vgpr30_vgpr31
                                        ; implicit-def: $vgpr34_vgpr35
                                        ; implicit-def: $vgpr38_vgpr39
	s_xor_b32 exec_lo, exec_lo, s1
	s_cbranch_execz .LBB0_15
; %bb.12:
	s_add_u32 s10, s16, s10
	s_addc_u32 s11, s17, s11
                                        ; implicit-def: $vgpr16_vgpr17
                                        ; implicit-def: $vgpr12_vgpr13
                                        ; implicit-def: $vgpr8_vgpr9
	s_load_b64 s[10:11], s[10:11], 0x0
	s_waitcnt lgkmcnt(0)
	v_mul_lo_u32 v6, s11, v42
	v_mul_lo_u32 v7, s10, v43
	v_mad_u64_u32 v[2:3], null, s10, v42, 0
	s_delay_alu instid0(VALU_DEP_1) | instskip(SKIP_1) | instid1(VALU_DEP_2)
	v_add3_u32 v3, v3, v7, v6
	v_mul_u32_u24_e32 v6, 0xf5, v1
	v_lshlrev_b64 v[1:2], 4, v[2:3]
	v_lshlrev_b64 v[3:4], 4, v[4:5]
	s_delay_alu instid0(VALU_DEP_3) | instskip(NEXT) | instid1(VALU_DEP_3)
	v_sub_nc_u32_e32 v46, v0, v6
	v_add_co_u32 v0, s0, s4, v1
	s_delay_alu instid0(VALU_DEP_1) | instskip(NEXT) | instid1(VALU_DEP_3)
	v_add_co_ci_u32_e64 v1, s0, s5, v2, s0
	v_lshlrev_b32_e32 v2, 4, v46
	s_delay_alu instid0(VALU_DEP_3) | instskip(NEXT) | instid1(VALU_DEP_1)
	v_add_co_u32 v0, s0, v0, v3
	v_add_co_ci_u32_e64 v1, s0, v1, v4, s0
	s_mov_b32 s4, exec_lo
	s_delay_alu instid0(VALU_DEP_2) | instskip(NEXT) | instid1(VALU_DEP_1)
	v_add_co_u32 v2, s0, v0, v2
	v_add_co_ci_u32_e64 v3, s0, 0, v1, s0
	s_delay_alu instid0(VALU_DEP_2) | instskip(NEXT) | instid1(VALU_DEP_1)
	v_add_co_u32 v0, s0, 0x1000, v2
	v_add_co_ci_u32_e64 v1, s0, 0, v3, s0
	v_add_co_u32 v6, s0, 0x2000, v2
	s_delay_alu instid0(VALU_DEP_1) | instskip(SKIP_1) | instid1(VALU_DEP_1)
	v_add_co_ci_u32_e64 v7, s0, 0, v3, s0
	v_add_co_u32 v44, s0, 0x4000, v2
	v_add_co_ci_u32_e64 v45, s0, 0, v3, s0
	v_add_co_u32 v4, s0, 0x5000, v2
	s_delay_alu instid0(VALU_DEP_1)
	v_add_co_ci_u32_e64 v5, s0, 0, v3, s0
	s_clause 0x4
	global_load_b128 v[36:39], v[2:3], off
	global_load_b128 v[32:35], v[0:1], off offset:1392
	global_load_b128 v[28:31], v[6:7], off offset:2784
	;; [unrolled: 1-line block ×4, first 2 shown]
                                        ; implicit-def: $vgpr4_vgpr5
                                        ; implicit-def: $vgpr0_vgpr1
	v_cmpx_gt_u32_e32 0x62, v46
; %bb.13:
	v_add_co_u32 v0, s0, 0x3000, v2
	s_delay_alu instid0(VALU_DEP_1) | instskip(SKIP_1) | instid1(VALU_DEP_1)
	v_add_co_ci_u32_e64 v1, s0, 0, v3, s0
	v_add_co_u32 v47, s0, 0x6000, v2
	v_add_co_ci_u32_e64 v48, s0, 0, v3, s0
	s_clause 0x4
	global_load_b128 v[16:19], v[2:3], off offset:3920
	global_load_b128 v[12:15], v[6:7], off offset:1216
	;; [unrolled: 1-line block ×5, first 2 shown]
; %bb.14:
	s_or_b32 exec_lo, exec_lo, s4
	v_mov_b32_e32 v44, v46
.LBB0_15:
	s_or_b32 exec_lo, exec_lo, s1
	s_waitcnt vmcnt(1)
	v_add_f64 v[47:48], v[24:25], v[28:29]
	s_waitcnt vmcnt(0)
	v_add_f64 v[49:50], v[20:21], v[32:33]
	v_add_f64 v[51:52], v[32:33], v[36:37]
	v_add_f64 v[53:54], v[34:35], -v[22:23]
	v_add_f64 v[55:56], v[30:31], -v[26:27]
	s_mov_b32 s4, 0x134454ff
	s_mov_b32 s5, 0xbfee6f0e
	;; [unrolled: 1-line block ×4, first 2 shown]
	v_add_f64 v[57:58], v[20:21], -v[24:25]
	v_add_f64 v[59:60], v[28:29], -v[32:33]
	;; [unrolled: 1-line block ×3, first 2 shown]
	s_mov_b32 s12, 0x4755a5e
	s_mov_b32 s13, 0xbfe2cf23
	;; [unrolled: 1-line block ×6, first 2 shown]
	v_cmp_gt_u32_e64 s0, 0x62, v46
	v_fma_f64 v[47:48], v[47:48], -0.5, v[36:37]
	v_fma_f64 v[36:37], v[49:50], -0.5, v[36:37]
	v_add_f64 v[49:50], v[32:33], -v[28:29]
	v_add_f64 v[51:52], v[28:29], v[51:52]
	s_delay_alu instid0(VALU_DEP_4) | instskip(NEXT) | instid1(VALU_DEP_4)
	v_fma_f64 v[63:64], v[53:54], s[4:5], v[47:48]
	v_fma_f64 v[65:66], v[55:56], s[10:11], v[36:37]
	;; [unrolled: 1-line block ×4, first 2 shown]
	v_add_f64 v[49:50], v[57:58], v[49:50]
	v_add_f64 v[57:58], v[61:62], v[59:60]
	;; [unrolled: 1-line block ×3, first 2 shown]
	v_fma_f64 v[59:60], v[55:56], s[12:13], v[63:64]
	v_fma_f64 v[61:62], v[53:54], s[12:13], v[65:66]
	;; [unrolled: 1-line block ×4, first 2 shown]
	v_add_f64 v[51:52], v[20:21], v[51:52]
	v_fma_f64 v[53:54], v[49:50], s[16:17], v[59:60]
	v_fma_f64 v[55:56], v[57:58], s[16:17], v[61:62]
	;; [unrolled: 1-line block ×4, first 2 shown]
	v_mad_u32_u24 v36, v46, 40, 0
	ds_store_2addr_b64 v36, v[51:52], v[53:54] offset1:1
	ds_store_2addr_b64 v36, v[55:56], v[57:58] offset0:2 offset1:3
	ds_store_b64 v36, v[47:48] offset:32
	v_add_nc_u32_e32 v37, 0x2648, v36
	v_add_nc_u32_e32 v45, 0x2658, v36
	s_and_saveexec_b32 s1, s0
	s_cbranch_execz .LBB0_17
; %bb.16:
	v_add_f64 v[47:48], v[0:1], v[12:13]
	v_add_f64 v[49:50], v[4:5], v[8:9]
	v_add_f64 v[51:52], v[10:11], -v[6:7]
	v_add_f64 v[53:54], v[12:13], v[16:17]
	v_add_f64 v[55:56], v[14:15], -v[2:3]
	v_add_f64 v[57:58], v[4:5], -v[0:1]
	v_add_f64 v[59:60], v[12:13], -v[8:9]
	v_add_f64 v[61:62], v[0:1], -v[4:5]
	v_fma_f64 v[47:48], v[47:48], -0.5, v[16:17]
	v_fma_f64 v[16:17], v[49:50], -0.5, v[16:17]
	v_add_f64 v[49:50], v[8:9], -v[12:13]
	v_add_f64 v[53:54], v[8:9], v[53:54]
	s_delay_alu instid0(VALU_DEP_4)
	v_fma_f64 v[63:64], v[51:52], s[4:5], v[47:48]
	v_fma_f64 v[47:48], v[51:52], s[10:11], v[47:48]
	;; [unrolled: 1-line block ×4, first 2 shown]
	v_add_f64 v[49:50], v[57:58], v[49:50]
	v_add_f64 v[57:58], v[61:62], v[59:60]
	;; [unrolled: 1-line block ×3, first 2 shown]
	v_fma_f64 v[59:60], v[55:56], s[14:15], v[63:64]
	v_fma_f64 v[47:48], v[55:56], s[12:13], v[47:48]
	;; [unrolled: 1-line block ×4, first 2 shown]
	v_add_f64 v[51:52], v[0:1], v[53:54]
	v_fma_f64 v[53:54], v[49:50], s[16:17], v[59:60]
	v_fma_f64 v[47:48], v[49:50], s[16:17], v[47:48]
	;; [unrolled: 1-line block ×4, first 2 shown]
	ds_store_2addr_b64 v45, v[47:48], v[53:54] offset1:1
	ds_store_2addr_b64 v37, v[51:52], v[49:50] offset1:1
	ds_store_b64 v36, v[16:17] offset:9832
.LBB0_17:
	s_or_b32 exec_lo, exec_lo, s1
	v_add_f64 v[16:17], v[26:27], v[30:31]
	v_add_f64 v[47:48], v[22:23], v[34:35]
	;; [unrolled: 1-line block ×3, first 2 shown]
	v_add_f64 v[20:21], v[32:33], -v[20:21]
	v_add_f64 v[24:25], v[28:29], -v[24:25]
	;; [unrolled: 1-line block ×4, first 2 shown]
	s_waitcnt lgkmcnt(0)
	s_barrier
	buffer_gl0_inv
	v_fma_f64 v[16:17], v[16:17], -0.5, v[38:39]
	v_fma_f64 v[28:29], v[47:48], -0.5, v[38:39]
	v_add_f64 v[38:39], v[22:23], -v[26:27]
	v_add_f64 v[30:31], v[30:31], v[49:50]
	v_add_f64 v[47:48], v[26:27], -v[22:23]
	v_fma_f64 v[49:50], v[20:21], s[10:11], v[16:17]
	v_fma_f64 v[51:52], v[24:25], s[4:5], v[28:29]
	v_fma_f64 v[28:29], v[24:25], s[10:11], v[28:29]
	v_fma_f64 v[16:17], v[20:21], s[4:5], v[16:17]
	v_add_f64 v[32:33], v[38:39], v[32:33]
	v_add_f64 v[26:27], v[26:27], v[30:31]
	;; [unrolled: 1-line block ×3, first 2 shown]
	v_fma_f64 v[30:31], v[24:25], s[14:15], v[49:50]
	v_fma_f64 v[38:39], v[20:21], s[14:15], v[51:52]
	v_fma_f64 v[20:21], v[20:21], s[12:13], v[28:29]
	v_fma_f64 v[16:17], v[24:25], s[12:13], v[16:17]
	v_add_f64 v[47:48], v[22:23], v[26:27]
	v_fma_f64 v[49:50], v[32:33], s[16:17], v[30:31]
	v_fma_f64 v[38:39], v[34:35], s[16:17], v[38:39]
	;; [unrolled: 1-line block ×4, first 2 shown]
	v_lshlrev_b32_e32 v32, 5, v46
	s_delay_alu instid0(VALU_DEP_1) | instskip(SKIP_1) | instid1(VALU_DEP_2)
	v_sub_nc_u32_e32 v16, v36, v32
	v_sub_nc_u32_e32 v32, 0, v32
	v_add_nc_u32_e32 v24, 0xf00, v16
	v_add_nc_u32_e32 v25, 0x1e80, v16
	ds_load_2addr_b64 v[20:23], v16 offset1:245
	ds_load_b64 v[16:17], v16 offset:11760
	ds_load_2addr_b64 v[28:31], v24 offset0:10 offset1:255
	ds_load_2addr_b64 v[24:27], v25 offset0:4 offset1:249
	s_waitcnt lgkmcnt(0)
	s_barrier
	buffer_gl0_inv
	ds_store_2addr_b64 v36, v[47:48], v[49:50] offset1:1
	ds_store_2addr_b64 v36, v[38:39], v[34:35] offset0:2 offset1:3
	ds_store_b64 v36, v[51:52] offset:32
	s_and_saveexec_b32 s1, s0
	s_cbranch_execz .LBB0_19
; %bb.18:
	v_add_f64 v[33:34], v[2:3], v[14:15]
	v_add_f64 v[38:39], v[6:7], v[10:11]
	;; [unrolled: 1-line block ×3, first 2 shown]
	v_add_f64 v[4:5], v[8:9], -v[4:5]
	v_add_f64 v[0:1], v[12:13], -v[0:1]
	s_mov_b32 s4, 0x134454ff
	s_mov_b32 s5, 0x3fee6f0e
	s_mov_b32 s11, 0xbfee6f0e
	s_mov_b32 s10, s4
	v_fma_f64 v[8:9], v[33:34], -0.5, v[18:19]
	v_fma_f64 v[12:13], v[38:39], -0.5, v[18:19]
	v_add_f64 v[18:19], v[14:15], -v[10:11]
	v_add_f64 v[14:15], v[10:11], -v[14:15]
	;; [unrolled: 1-line block ×3, first 2 shown]
	v_add_f64 v[10:11], v[10:11], v[47:48]
	v_add_f64 v[33:34], v[2:3], -v[6:7]
	v_fma_f64 v[47:48], v[4:5], s[10:11], v[8:9]
	v_fma_f64 v[8:9], v[4:5], s[4:5], v[8:9]
	;; [unrolled: 1-line block ×4, first 2 shown]
	s_mov_b32 s4, 0x4755a5e
	s_mov_b32 s5, 0x3fe2cf23
	;; [unrolled: 1-line block ×4, first 2 shown]
	v_add_f64 v[14:15], v[38:39], v[14:15]
	v_add_f64 v[6:7], v[6:7], v[10:11]
	;; [unrolled: 1-line block ×3, first 2 shown]
	v_fma_f64 v[10:11], v[0:1], s[4:5], v[47:48]
	v_fma_f64 v[0:1], v[0:1], s[10:11], v[8:9]
	v_fma_f64 v[8:9], v[4:5], s[4:5], v[49:50]
	v_fma_f64 v[4:5], v[4:5], s[10:11], v[12:13]
	s_mov_b32 s4, 0x372fe950
	s_mov_b32 s5, 0x3fd3c6ef
	v_add_f64 v[2:3], v[2:3], v[6:7]
	v_fma_f64 v[6:7], v[14:15], s[4:5], v[10:11]
	v_fma_f64 v[0:1], v[14:15], s[4:5], v[0:1]
	;; [unrolled: 1-line block ×4, first 2 shown]
	ds_store_2addr_b64 v45, v[6:7], v[0:1] offset1:1
	ds_store_2addr_b64 v37, v[2:3], v[8:9] offset1:1
	ds_store_b64 v36, v[4:5] offset:9832
.LBB0_19:
	s_or_b32 exec_lo, exec_lo, s1
	v_and_b32_e32 v7, 0xff, v46
	s_waitcnt lgkmcnt(0)
	s_barrier
	buffer_gl0_inv
	v_add_nc_u32_e32 v14, v36, v32
	v_mul_lo_u16 v0, 0xcd, v7
	s_mov_b32 s4, 0x37e14327
	s_mov_b32 s10, 0xe976ee23
	;; [unrolled: 1-line block ×3, first 2 shown]
	v_add_nc_u32_e32 v8, 0x1e80, v14
	v_lshrrev_b16 v13, 10, v0
	s_mov_b32 s14, 0x36b3c0b5
	s_mov_b32 s5, 0x3fe948f6
	s_mov_b32 s11, 0x3fe11646
	s_mov_b32 s1, 0xbfebfeb5
	v_mul_lo_u16 v0, v13, 5
	s_mov_b32 s15, 0x3fac98ee
	s_mov_b32 s12, 0xaaaaaaaa
	;; [unrolled: 1-line block ×4, first 2 shown]
	v_sub_nc_u16 v0, v46, v0
	s_mov_b32 s13, 0xbff2aaaa
	s_mov_b32 s17, 0x3fe77f67
	s_mov_b32 s19, 0xbfe77f67
	s_mov_b32 s21, 0xbfd5d0dc
	v_and_b32_e32 v45, 0xff, v0
	s_mov_b32 s23, 0x3fd5d0dc
	s_mov_b32 s18, s16
	;; [unrolled: 1-line block ×4, first 2 shown]
	v_mul_u32_u24_e32 v0, 6, v45
	s_mov_b32 s25, 0xbfdc38aa
	v_mul_lo_u16 v7, 0xeb, v7
	s_delay_alu instid0(VALU_DEP_2)
	v_lshlrev_b32_e32 v4, 4, v0
	s_clause 0x5
	global_load_b128 v[0:3], v4, s[8:9]
	global_load_b128 v[9:12], v4, s[8:9] offset:16
	global_load_b128 v[47:50], v4, s[8:9] offset:80
	;; [unrolled: 1-line block ×5, first 2 shown]
	v_add_nc_u32_e32 v4, 0xf00, v14
	v_lshrrev_b16 v7, 13, v7
	ds_load_2addr_b64 v[32:35], v14 offset1:245
	ds_load_2addr_b64 v[36:39], v4 offset0:10 offset1:255
	ds_load_b64 v[5:6], v14 offset:11760
	ds_load_2addr_b64 v[63:66], v8 offset0:4 offset1:249
	s_waitcnt vmcnt(0) lgkmcnt(0)
	s_barrier
	buffer_gl0_inv
	v_mul_f64 v[18:19], v[34:35], v[2:3]
	v_mul_f64 v[67:68], v[36:37], v[11:12]
	;; [unrolled: 1-line block ×12, first 2 shown]
	v_fma_f64 v[18:19], v[22:23], v[0:1], v[18:19]
	v_fma_f64 v[22:23], v[28:29], v[9:10], v[67:68]
	;; [unrolled: 1-line block ×4, first 2 shown]
	v_fma_f64 v[0:1], v[34:35], v[0:1], -v[2:3]
	v_fma_f64 v[2:3], v[36:37], v[9:10], -v[11:12]
	;; [unrolled: 1-line block ×4, first 2 shown]
	v_fma_f64 v[11:12], v[30:31], v[55:56], v[73:74]
	v_fma_f64 v[28:29], v[38:39], v[55:56], -v[57:58]
	v_fma_f64 v[24:25], v[24:25], v[59:60], v[75:76]
	v_fma_f64 v[30:31], v[63:64], v[59:60], -v[61:62]
	v_add_f64 v[34:35], v[18:19], v[15:16]
	v_add_f64 v[36:37], v[22:23], v[26:27]
	v_add_f64 v[22:23], v[22:23], -v[26:27]
	v_add_f64 v[15:16], v[18:19], -v[15:16]
	v_add_f64 v[38:39], v[0:1], v[5:6]
	v_add_f64 v[47:48], v[2:3], v[9:10]
	v_add_f64 v[2:3], v[2:3], -v[9:10]
	v_add_f64 v[0:1], v[0:1], -v[5:6]
	v_add_f64 v[9:10], v[11:12], v[24:25]
	v_add_f64 v[49:50], v[30:31], -v[28:29]
	v_add_f64 v[26:27], v[28:29], v[30:31]
	;; [unrolled: 2-line block ×4, first 2 shown]
	v_add_f64 v[30:31], v[2:3], -v[0:1]
	v_add_f64 v[24:25], v[34:35], -v[9:10]
	;; [unrolled: 1-line block ×5, first 2 shown]
	v_add_f64 v[2:3], v[49:50], v[2:3]
	v_add_f64 v[49:50], v[0:1], -v[49:50]
	v_add_f64 v[34:35], v[36:37], -v[34:35]
	;; [unrolled: 1-line block ×3, first 2 shown]
	v_add_f64 v[5:6], v[9:10], v[5:6]
	v_add_f64 v[9:10], v[9:10], -v[36:37]
	v_mul_f64 v[59:60], v[55:56], s[0:1]
	v_add_f64 v[17:18], v[26:27], v[17:18]
	v_add_f64 v[26:27], v[26:27], -v[47:48]
	v_mul_f64 v[57:58], v[30:31], s[0:1]
	v_mul_f64 v[24:25], v[24:25], s[4:5]
	;; [unrolled: 1-line block ×5, first 2 shown]
	v_add_f64 v[0:1], v[2:3], v[0:1]
	v_add_f64 v[19:20], v[20:21], v[5:6]
	v_mul_f64 v[36:37], v[9:10], s[14:15]
	v_add_f64 v[21:22], v[11:12], v[22:23]
	v_add_f64 v[11:12], v[15:16], -v[11:12]
	v_add_f64 v[32:33], v[32:33], v[17:18]
	v_mul_f64 v[47:48], v[26:27], s[14:15]
	v_fma_f64 v[2:3], v[9:10], s[14:15], v[24:25]
	v_fma_f64 v[9:10], v[49:50], s[20:21], v[28:29]
	v_fma_f64 v[28:29], v[30:31], s[0:1], -v[28:29]
	v_fma_f64 v[30:31], v[49:50], s[22:23], -v[57:58]
	;; [unrolled: 1-line block ×4, first 2 shown]
	v_fma_f64 v[5:6], v[5:6], s[12:13], v[19:20]
	v_fma_f64 v[34:35], v[34:35], s[16:17], -v[36:37]
	v_add_f64 v[15:16], v[21:22], v[15:16]
	v_fma_f64 v[21:22], v[26:27], s[14:15], v[51:52]
	v_fma_f64 v[25:26], v[11:12], s[20:21], v[53:54]
	v_fma_f64 v[36:37], v[55:56], s[0:1], -v[53:54]
	v_fma_f64 v[11:12], v[11:12], s[22:23], -v[59:60]
	v_fma_f64 v[17:18], v[17:18], s[12:13], v[32:33]
	v_fma_f64 v[38:39], v[38:39], s[16:17], -v[47:48]
	v_fma_f64 v[9:10], v[0:1], s[24:25], v[9:10]
	v_fma_f64 v[27:28], v[0:1], s[24:25], v[28:29]
	;; [unrolled: 1-line block ×3, first 2 shown]
	v_add_f64 v[2:3], v[2:3], v[5:6]
	v_add_f64 v[23:24], v[23:24], v[5:6]
	;; [unrolled: 1-line block ×3, first 2 shown]
	v_fma_f64 v[25:26], v[15:16], s[24:25], v[25:26]
	v_fma_f64 v[29:30], v[15:16], s[24:25], v[36:37]
	;; [unrolled: 1-line block ×3, first 2 shown]
	v_add_f64 v[15:16], v[21:22], v[17:18]
	v_add_f64 v[21:22], v[49:50], v[17:18]
	;; [unrolled: 1-line block ×5, first 2 shown]
	v_add_f64 v[0:1], v[23:24], -v[0:1]
	v_add_f64 v[38:39], v[5:6], -v[27:28]
	v_add_f64 v[5:6], v[27:28], v[5:6]
	v_add_f64 v[2:3], v[2:3], -v[9:10]
	v_mul_lo_u16 v9, v7, 35
	v_add_f64 v[23:24], v[15:16], -v[25:26]
	v_add_f64 v[27:28], v[21:22], -v[11:12]
	v_add_f64 v[47:48], v[29:30], v[17:18]
	v_add_f64 v[29:30], v[17:18], -v[29:30]
	v_add_f64 v[21:22], v[11:12], v[21:22]
	v_add_f64 v[25:26], v[25:26], v[15:16]
	v_sub_nc_u16 v9, v46, v9
	v_and_b32_e32 v10, 0xffff, v13
	v_and_b32_e32 v7, 0xffff, v7
	s_delay_alu instid0(VALU_DEP_3) | instskip(NEXT) | instid1(VALU_DEP_3)
	v_and_b32_e32 v13, 0xff, v9
	v_mul_u32_u24_e32 v9, 0x118, v10
	v_lshlrev_b32_e32 v10, 3, v45
	s_delay_alu instid0(VALU_DEP_3) | instskip(NEXT) | instid1(VALU_DEP_2)
	v_mul_u32_u24_e32 v11, 6, v13
	v_add3_u32 v31, 0, v9, v10
	ds_store_2addr_b64 v31, v[19:20], v[34:35] offset1:5
	ds_store_2addr_b64 v31, v[36:37], v[38:39] offset0:10 offset1:15
	ds_store_2addr_b64 v31, v[5:6], v[0:1] offset0:20 offset1:25
	ds_store_b64 v31, v[2:3] offset:240
	v_lshlrev_b32_e32 v45, 4, v11
	s_waitcnt lgkmcnt(0)
	s_barrier
	buffer_gl0_inv
	ds_load_2addr_b64 v[0:3], v14 offset1:245
	ds_load_2addr_b64 v[9:12], v4 offset0:10 offset1:255
	ds_load_2addr_b64 v[15:18], v8 offset0:4 offset1:249
	ds_load_b64 v[5:6], v14 offset:11760
	s_waitcnt lgkmcnt(0)
	s_barrier
	buffer_gl0_inv
	ds_store_2addr_b64 v31, v[32:33], v[23:24] offset1:5
	ds_store_2addr_b64 v31, v[27:28], v[47:48] offset0:10 offset1:15
	ds_store_2addr_b64 v31, v[29:30], v[21:22] offset0:20 offset1:25
	ds_store_b64 v31, v[25:26] offset:240
	s_waitcnt lgkmcnt(0)
	s_barrier
	buffer_gl0_inv
	s_clause 0x5
	global_load_b128 v[19:22], v45, s[8:9] offset:480
	global_load_b128 v[23:26], v45, s[8:9] offset:496
	;; [unrolled: 1-line block ×6, first 2 shown]
	ds_load_2addr_b64 v[51:54], v14 offset1:245
	ds_load_2addr_b64 v[55:58], v4 offset0:10 offset1:255
	ds_load_b64 v[63:64], v14 offset:11760
	ds_load_2addr_b64 v[59:62], v8 offset0:4 offset1:249
	s_waitcnt vmcnt(0) lgkmcnt(0)
	s_barrier
	buffer_gl0_inv
	v_mul_f64 v[65:66], v[53:54], v[21:22]
	v_mul_f64 v[67:68], v[55:56], v[25:26]
	;; [unrolled: 1-line block ×12, first 2 shown]
	v_fma_f64 v[2:3], v[2:3], v[19:20], v[65:66]
	v_fma_f64 v[9:10], v[9:10], v[23:24], v[67:68]
	;; [unrolled: 1-line block ×4, first 2 shown]
	v_fma_f64 v[19:20], v[53:54], v[19:20], -v[21:22]
	v_fma_f64 v[21:22], v[55:56], v[23:24], -v[25:26]
	v_fma_f64 v[23:24], v[63:64], v[27:28], -v[29:30]
	v_fma_f64 v[25:26], v[61:62], v[31:32], -v[33:34]
	v_fma_f64 v[11:12], v[11:12], v[35:36], v[73:74]
	v_fma_f64 v[27:28], v[57:58], v[35:36], -v[37:38]
	v_fma_f64 v[15:16], v[15:16], v[47:48], v[75:76]
	v_fma_f64 v[29:30], v[59:60], v[47:48], -v[49:50]
	v_add_f64 v[31:32], v[2:3], v[5:6]
	v_add_f64 v[33:34], v[9:10], v[17:18]
	v_add_f64 v[9:10], v[9:10], -v[17:18]
	v_add_f64 v[2:3], v[2:3], -v[5:6]
	v_add_f64 v[35:36], v[19:20], v[23:24]
	v_add_f64 v[37:38], v[21:22], v[25:26]
	v_add_f64 v[21:22], v[21:22], -v[25:26]
	v_add_f64 v[19:20], v[19:20], -v[23:24]
	v_add_f64 v[25:26], v[11:12], v[15:16]
	v_add_f64 v[47:48], v[29:30], -v[27:28]
	v_add_f64 v[17:18], v[27:28], v[29:30]
	;; [unrolled: 2-line block ×4, first 2 shown]
	v_add_f64 v[29:30], v[21:22], -v[19:20]
	v_add_f64 v[15:16], v[31:32], -v[25:26]
	;; [unrolled: 1-line block ×5, first 2 shown]
	v_add_f64 v[21:22], v[47:48], v[21:22]
	v_add_f64 v[47:48], v[19:20], -v[47:48]
	v_add_f64 v[31:32], v[33:34], -v[31:32]
	v_add_f64 v[9:10], v[11:12], v[9:10]
	v_add_f64 v[11:12], v[2:3], -v[11:12]
	v_add_f64 v[35:36], v[37:38], -v[35:36]
	v_add_f64 v[23:24], v[25:26], v[23:24]
	v_add_f64 v[25:26], v[25:26], -v[33:34]
	v_mul_f64 v[59:60], v[55:56], s[0:1]
	v_add_f64 v[5:6], v[17:18], v[5:6]
	v_add_f64 v[17:18], v[17:18], -v[37:38]
	v_mul_f64 v[57:58], v[29:30], s[0:1]
	v_mul_f64 v[15:16], v[15:16], s[4:5]
	;; [unrolled: 1-line block ×5, first 2 shown]
	v_add_f64 v[19:20], v[21:22], v[19:20]
	v_add_f64 v[2:3], v[9:10], v[2:3]
	;; [unrolled: 1-line block ×3, first 2 shown]
	v_mul_f64 v[33:34], v[25:26], s[14:15]
	v_add_f64 v[51:52], v[51:52], v[5:6]
	v_mul_f64 v[37:38], v[17:18], s[14:15]
	v_fma_f64 v[21:22], v[25:26], s[14:15], v[15:16]
	v_fma_f64 v[25:26], v[47:48], s[20:21], v[27:28]
	v_fma_f64 v[27:28], v[29:30], s[0:1], -v[27:28]
	v_fma_f64 v[29:30], v[47:48], s[22:23], -v[57:58]
	;; [unrolled: 1-line block ×3, first 2 shown]
	v_fma_f64 v[9:10], v[17:18], s[14:15], v[49:50]
	v_fma_f64 v[17:18], v[11:12], s[20:21], v[53:54]
	v_fma_f64 v[11:12], v[11:12], s[22:23], -v[59:60]
	v_fma_f64 v[47:48], v[35:36], s[18:19], -v[49:50]
	v_fma_f64 v[23:24], v[23:24], s[12:13], v[0:1]
	v_fma_f64 v[31:32], v[31:32], s[16:17], -v[33:34]
	v_fma_f64 v[33:34], v[55:56], s[0:1], -v[53:54]
	v_fma_f64 v[5:6], v[5:6], s[12:13], v[51:52]
	v_fma_f64 v[35:36], v[35:36], s[16:17], -v[37:38]
	v_fma_f64 v[25:26], v[19:20], s[24:25], v[25:26]
	v_fma_f64 v[27:28], v[19:20], s[24:25], v[27:28]
	;; [unrolled: 1-line block ×4, first 2 shown]
	v_add_f64 v[21:22], v[21:22], v[23:24]
	v_add_f64 v[15:16], v[15:16], v[23:24]
	;; [unrolled: 1-line block ×3, first 2 shown]
	v_fma_f64 v[29:30], v[2:3], s[24:25], v[33:34]
	v_add_f64 v[9:10], v[9:10], v[5:6]
	v_fma_f64 v[2:3], v[2:3], s[24:25], v[11:12]
	v_add_f64 v[11:12], v[47:48], v[5:6]
	v_add_f64 v[5:6], v[35:36], v[5:6]
	;; [unrolled: 1-line block ×4, first 2 shown]
	v_add_f64 v[35:36], v[23:24], -v[27:28]
	v_add_f64 v[23:24], v[27:28], v[23:24]
	v_add_f64 v[15:16], v[15:16], -v[19:20]
	v_add_f64 v[19:20], v[21:22], -v[25:26]
	v_add_f64 v[21:22], v[9:10], -v[17:18]
	v_add_f64 v[25:26], v[11:12], -v[2:3]
	v_add_f64 v[27:28], v[29:30], v[5:6]
	v_add_f64 v[29:30], v[5:6], -v[29:30]
	v_add_f64 v[37:38], v[2:3], v[11:12]
	v_add_f64 v[17:18], v[17:18], v[9:10]
	v_mul_u32_u24_e32 v2, 0x7a8, v7
	v_lshlrev_b32_e32 v3, 3, v13
	s_delay_alu instid0(VALU_DEP_1)
	v_add3_u32 v39, 0, v2, v3
	ds_store_2addr_b64 v39, v[0:1], v[31:32] offset1:35
	ds_store_2addr_b64 v39, v[33:34], v[35:36] offset0:70 offset1:105
	ds_store_2addr_b64 v39, v[23:24], v[15:16] offset0:140 offset1:175
	ds_store_b64 v39, v[19:20] offset:1680
	s_waitcnt lgkmcnt(0)
	s_barrier
	buffer_gl0_inv
	ds_load_2addr_b64 v[0:3], v14 offset1:245
	ds_load_2addr_b64 v[4:7], v4 offset0:10 offset1:255
	ds_load_2addr_b64 v[8:11], v8 offset0:4 offset1:249
	ds_load_b64 v[12:13], v14 offset:11760
	s_waitcnt lgkmcnt(0)
	s_barrier
	buffer_gl0_inv
	ds_store_2addr_b64 v39, v[51:52], v[21:22] offset1:35
	ds_store_2addr_b64 v39, v[25:26], v[27:28] offset0:70 offset1:105
	ds_store_2addr_b64 v39, v[29:30], v[37:38] offset0:140 offset1:175
	ds_store_b64 v39, v[17:18] offset:1680
	s_waitcnt lgkmcnt(0)
	s_barrier
	buffer_gl0_inv
	s_and_saveexec_b32 s26, vcc_lo
	s_cbranch_execz .LBB0_21
; %bb.20:
	v_mul_u32_u24_e32 v15, 6, v46
	v_lshlrev_b64 v[40:41], 4, v[40:41]
	s_delay_alu instid0(VALU_DEP_2)
	v_lshlrev_b32_e32 v35, 4, v15
	s_clause 0x5
	global_load_b128 v[15:18], v35, s[8:9] offset:3856
	global_load_b128 v[19:22], v35, s[8:9] offset:3904
	;; [unrolled: 1-line block ×6, first 2 shown]
	s_waitcnt vmcnt(5)
	v_mul_f64 v[49:50], v[4:5], v[17:18]
	s_waitcnt vmcnt(4)
	v_mul_f64 v[51:52], v[10:11], v[21:22]
	;; [unrolled: 2-line block ×4, first 2 shown]
	v_mul_f64 v[57:58], v[4:5], v[15:16]
	v_mul_f64 v[59:60], v[10:11], v[19:20]
	;; [unrolled: 1-line block ×4, first 2 shown]
	v_add_nc_u32_e32 v2, 0xf00, v14
	v_add_nc_u32_e32 v10, 0x1e80, v14
	ds_load_2addr_b64 v[2:5], v2 offset0:10 offset1:255
	ds_load_2addr_b64 v[10:13], v10 offset0:4 offset1:249
	ds_load_2addr_b64 v[45:48], v14 offset1:245
	ds_load_b64 v[65:66], v14 offset:11760
	s_waitcnt vmcnt(1)
	v_mul_f64 v[67:68], v[8:9], v[31:32]
	s_waitcnt vmcnt(0)
	v_mul_f64 v[69:70], v[6:7], v[35:36]
	v_mul_f64 v[6:7], v[6:7], v[37:38]
	v_mul_f64 v[8:9], v[8:9], v[33:34]
	s_waitcnt lgkmcnt(3)
	v_fma_f64 v[14:15], v[2:3], v[15:16], -v[49:50]
	s_waitcnt lgkmcnt(2)
	v_fma_f64 v[19:20], v[12:13], v[19:20], -v[51:52]
	;; [unrolled: 2-line block ×4, first 2 shown]
	v_fma_f64 v[2:3], v[2:3], v[17:18], v[57:58]
	v_fma_f64 v[12:13], v[12:13], v[21:22], v[59:60]
	v_fma_f64 v[16:17], v[47:48], v[25:26], v[61:62]
	v_fma_f64 v[21:22], v[65:66], v[29:30], v[63:64]
	v_fma_f64 v[25:26], v[10:11], v[33:34], v[67:68]
	v_fma_f64 v[29:30], v[4:5], v[37:38], v[69:70]
	v_fma_f64 v[4:5], v[4:5], v[35:36], -v[6:7]
	v_fma_f64 v[6:7], v[10:11], v[31:32], -v[8:9]
	v_add_f64 v[8:9], v[14:15], v[19:20]
	v_add_f64 v[10:11], v[23:24], v[27:28]
	;; [unrolled: 1-line block ×3, first 2 shown]
	v_add_f64 v[2:3], v[2:3], -v[12:13]
	v_add_f64 v[33:34], v[16:17], v[21:22]
	v_add_f64 v[16:17], v[16:17], -v[21:22]
	v_add_f64 v[35:36], v[25:26], -v[29:30]
	v_add_f64 v[25:26], v[25:26], v[29:30]
	v_add_f64 v[12:13], v[6:7], v[4:5]
	v_add_f64 v[4:5], v[6:7], -v[4:5]
	v_add_f64 v[6:7], v[14:15], -v[19:20]
	;; [unrolled: 1-line block ×3, first 2 shown]
	v_add_f64 v[21:22], v[8:9], v[10:11]
	v_add_f64 v[18:19], v[31:32], v[33:34]
	v_add_f64 v[37:38], v[2:3], -v[16:17]
	v_add_f64 v[23:24], v[35:36], -v[2:3]
	;; [unrolled: 1-line block ×4, first 2 shown]
	v_add_f64 v[51:52], v[35:36], v[2:3]
	v_add_f64 v[47:48], v[4:5], -v[6:7]
	v_add_f64 v[49:50], v[6:7], -v[14:15]
	;; [unrolled: 1-line block ×3, first 2 shown]
	v_add_f64 v[6:7], v[4:5], v[6:7]
	v_add_f64 v[4:5], v[14:15], -v[4:5]
	v_add_f64 v[20:21], v[12:13], v[21:22]
	v_add_f64 v[12:13], v[12:13], -v[8:9]
	v_add_f64 v[8:9], v[8:9], -v[10:11]
	v_add_f64 v[18:19], v[25:26], v[18:19]
	v_add_f64 v[25:26], v[25:26], -v[31:32]
	v_mul_f64 v[53:54], v[37:38], s[0:1]
	v_add_f64 v[31:32], v[31:32], -v[33:34]
	v_mul_f64 v[22:23], v[23:24], s[10:11]
	v_mul_f64 v[29:30], v[29:30], s[4:5]
	;; [unrolled: 1-line block ×3, first 2 shown]
	v_add_f64 v[16:17], v[51:52], v[16:17]
	v_add_f64 v[6:7], v[6:7], v[14:15]
	;; [unrolled: 1-line block ×3, first 2 shown]
	v_mul_f64 v[10:11], v[12:13], s[14:15]
	v_mul_f64 v[45:46], v[47:48], s[10:11]
	;; [unrolled: 1-line block ×3, first 2 shown]
	v_add_f64 v[0:1], v[0:1], v[18:19]
	v_mul_f64 v[33:34], v[25:26], s[14:15]
	v_fma_f64 v[14:15], v[35:36], s[20:21], v[22:23]
	v_fma_f64 v[24:25], v[25:26], s[14:15], v[29:30]
	;; [unrolled: 1-line block ×3, first 2 shown]
	v_fma_f64 v[35:36], v[35:36], s[22:23], -v[53:54]
	v_fma_f64 v[22:23], v[37:38], s[0:1], -v[22:23]
	;; [unrolled: 1-line block ×4, first 2 shown]
	v_fma_f64 v[20:21], v[20:21], s[12:13], v[2:3]
	v_fma_f64 v[8:9], v[8:9], s[16:17], -v[10:11]
	v_fma_f64 v[10:11], v[4:5], s[20:21], v[45:46]
	v_fma_f64 v[37:38], v[49:50], s[0:1], -v[45:46]
	v_mov_b32_e32 v45, 0
	v_fma_f64 v[18:19], v[18:19], s[12:13], v[0:1]
	v_fma_f64 v[4:5], v[4:5], s[22:23], -v[47:48]
	v_fma_f64 v[30:31], v[31:32], s[16:17], -v[33:34]
	v_fma_f64 v[32:33], v[16:17], s[24:25], v[14:15]
	v_fma_f64 v[34:35], v[16:17], s[24:25], v[35:36]
	;; [unrolled: 1-line block ×3, first 2 shown]
	v_add_f64 v[12:13], v[12:13], v[20:21]
	v_add_f64 v[22:23], v[26:27], v[20:21]
	v_fma_f64 v[46:47], v[6:7], s[24:25], v[10:11]
	v_fma_f64 v[36:37], v[6:7], s[24:25], v[37:38]
	v_add_f64 v[8:9], v[8:9], v[20:21]
	v_add_f64 v[38:39], v[24:25], v[18:19]
	v_fma_f64 v[4:5], v[6:7], s[24:25], v[4:5]
	v_add_f64 v[28:29], v[28:29], v[18:19]
	v_add_f64 v[30:31], v[30:31], v[18:19]
	v_mul_lo_u32 v10, s3, v42
	v_mul_lo_u32 v11, s2, v43
	v_mad_u64_u32 v[6:7], null, s2, v42, 0
	s_delay_alu instid0(VALU_DEP_1) | instskip(NEXT) | instid1(VALU_DEP_1)
	v_add3_u32 v7, v7, v11, v10
	v_lshlrev_b64 v[6:7], 4, v[6:7]
	s_delay_alu instid0(VALU_DEP_1) | instskip(NEXT) | instid1(VALU_DEP_2)
	v_add_co_u32 v42, vcc_lo, s6, v6
	v_add_co_ci_u32_e32 v43, vcc_lo, s7, v7, vcc_lo
	v_add_f64 v[26:27], v[12:13], -v[32:33]
	v_add_f64 v[10:11], v[34:35], v[22:23]
	v_add_f64 v[22:23], v[22:23], -v[34:35]
	v_add_f64 v[6:7], v[32:33], v[12:13]
	;; [unrolled: 2-line block ×3, first 2 shown]
	v_add_f64 v[18:19], v[16:17], v[8:9]
	v_add_f64 v[20:21], v[4:5], v[28:29]
	v_add_f64 v[16:17], v[30:31], -v[36:37]
	v_add_f64 v[12:13], v[36:37], v[30:31]
	v_add_f64 v[8:9], v[28:29], -v[4:5]
	v_add_f64 v[4:5], v[38:39], -v[46:47]
	v_lshlrev_b64 v[28:29], 4, v[44:45]
	v_add_co_u32 v30, vcc_lo, v42, v40
	v_add_co_ci_u32_e32 v31, vcc_lo, v43, v41, vcc_lo
	s_delay_alu instid0(VALU_DEP_2) | instskip(NEXT) | instid1(VALU_DEP_2)
	v_add_co_u32 v28, vcc_lo, v30, v28
	v_add_co_ci_u32_e32 v29, vcc_lo, v31, v29, vcc_lo
	s_delay_alu instid0(VALU_DEP_2) | instskip(NEXT) | instid1(VALU_DEP_2)
	v_add_co_u32 v30, vcc_lo, 0x1000, v28
	v_add_co_ci_u32_e32 v31, vcc_lo, 0, v29, vcc_lo
	v_add_co_u32 v32, vcc_lo, 0x2000, v28
	v_add_co_ci_u32_e32 v33, vcc_lo, 0, v29, vcc_lo
	v_add_co_u32 v34, vcc_lo, 0x3000, v28
	v_add_co_ci_u32_e32 v35, vcc_lo, 0, v29, vcc_lo
	v_add_co_u32 v36, vcc_lo, 0x4000, v28
	v_add_co_ci_u32_e32 v37, vcc_lo, 0, v29, vcc_lo
	v_add_co_u32 v38, vcc_lo, 0x5000, v28
	v_add_co_ci_u32_e32 v39, vcc_lo, 0, v29, vcc_lo
	s_clause 0x6
	global_store_b128 v[28:29], v[0:3], off
	global_store_b128 v[28:29], v[24:27], off offset:3920
	global_store_b128 v[30:31], v[20:23], off offset:3744
	;; [unrolled: 1-line block ×6, first 2 shown]
.LBB0_21:
	s_nop 0
	s_sendmsg sendmsg(MSG_DEALLOC_VGPRS)
	s_endpgm
	.section	.rodata,"a",@progbits
	.p2align	6, 0x0
	.amdhsa_kernel fft_rtc_back_len1715_factors_5_7_7_7_wgs_245_tpt_245_halfLds_dp_op_CI_CI_unitstride_sbrr_dirReg
		.amdhsa_group_segment_fixed_size 0
		.amdhsa_private_segment_fixed_size 0
		.amdhsa_kernarg_size 104
		.amdhsa_user_sgpr_count 15
		.amdhsa_user_sgpr_dispatch_ptr 0
		.amdhsa_user_sgpr_queue_ptr 0
		.amdhsa_user_sgpr_kernarg_segment_ptr 1
		.amdhsa_user_sgpr_dispatch_id 0
		.amdhsa_user_sgpr_private_segment_size 0
		.amdhsa_wavefront_size32 1
		.amdhsa_uses_dynamic_stack 0
		.amdhsa_enable_private_segment 0
		.amdhsa_system_sgpr_workgroup_id_x 1
		.amdhsa_system_sgpr_workgroup_id_y 0
		.amdhsa_system_sgpr_workgroup_id_z 0
		.amdhsa_system_sgpr_workgroup_info 0
		.amdhsa_system_vgpr_workitem_id 0
		.amdhsa_next_free_vgpr 77
		.amdhsa_next_free_sgpr 27
		.amdhsa_reserve_vcc 1
		.amdhsa_float_round_mode_32 0
		.amdhsa_float_round_mode_16_64 0
		.amdhsa_float_denorm_mode_32 3
		.amdhsa_float_denorm_mode_16_64 3
		.amdhsa_dx10_clamp 1
		.amdhsa_ieee_mode 1
		.amdhsa_fp16_overflow 0
		.amdhsa_workgroup_processor_mode 1
		.amdhsa_memory_ordered 1
		.amdhsa_forward_progress 0
		.amdhsa_shared_vgpr_count 0
		.amdhsa_exception_fp_ieee_invalid_op 0
		.amdhsa_exception_fp_denorm_src 0
		.amdhsa_exception_fp_ieee_div_zero 0
		.amdhsa_exception_fp_ieee_overflow 0
		.amdhsa_exception_fp_ieee_underflow 0
		.amdhsa_exception_fp_ieee_inexact 0
		.amdhsa_exception_int_div_zero 0
	.end_amdhsa_kernel
	.text
.Lfunc_end0:
	.size	fft_rtc_back_len1715_factors_5_7_7_7_wgs_245_tpt_245_halfLds_dp_op_CI_CI_unitstride_sbrr_dirReg, .Lfunc_end0-fft_rtc_back_len1715_factors_5_7_7_7_wgs_245_tpt_245_halfLds_dp_op_CI_CI_unitstride_sbrr_dirReg
                                        ; -- End function
	.section	.AMDGPU.csdata,"",@progbits
; Kernel info:
; codeLenInByte = 6884
; NumSgprs: 29
; NumVgprs: 77
; ScratchSize: 0
; MemoryBound: 1
; FloatMode: 240
; IeeeMode: 1
; LDSByteSize: 0 bytes/workgroup (compile time only)
; SGPRBlocks: 3
; VGPRBlocks: 9
; NumSGPRsForWavesPerEU: 29
; NumVGPRsForWavesPerEU: 77
; Occupancy: 16
; WaveLimiterHint : 1
; COMPUTE_PGM_RSRC2:SCRATCH_EN: 0
; COMPUTE_PGM_RSRC2:USER_SGPR: 15
; COMPUTE_PGM_RSRC2:TRAP_HANDLER: 0
; COMPUTE_PGM_RSRC2:TGID_X_EN: 1
; COMPUTE_PGM_RSRC2:TGID_Y_EN: 0
; COMPUTE_PGM_RSRC2:TGID_Z_EN: 0
; COMPUTE_PGM_RSRC2:TIDIG_COMP_CNT: 0
	.text
	.p2alignl 7, 3214868480
	.fill 96, 4, 3214868480
	.type	__hip_cuid_62b1bcfd4229e16a,@object ; @__hip_cuid_62b1bcfd4229e16a
	.section	.bss,"aw",@nobits
	.globl	__hip_cuid_62b1bcfd4229e16a
__hip_cuid_62b1bcfd4229e16a:
	.byte	0                               ; 0x0
	.size	__hip_cuid_62b1bcfd4229e16a, 1

	.ident	"AMD clang version 19.0.0git (https://github.com/RadeonOpenCompute/llvm-project roc-6.4.0 25133 c7fe45cf4b819c5991fe208aaa96edf142730f1d)"
	.section	".note.GNU-stack","",@progbits
	.addrsig
	.addrsig_sym __hip_cuid_62b1bcfd4229e16a
	.amdgpu_metadata
---
amdhsa.kernels:
  - .args:
      - .actual_access:  read_only
        .address_space:  global
        .offset:         0
        .size:           8
        .value_kind:     global_buffer
      - .offset:         8
        .size:           8
        .value_kind:     by_value
      - .actual_access:  read_only
        .address_space:  global
        .offset:         16
        .size:           8
        .value_kind:     global_buffer
      - .actual_access:  read_only
        .address_space:  global
        .offset:         24
        .size:           8
        .value_kind:     global_buffer
      - .actual_access:  read_only
        .address_space:  global
        .offset:         32
        .size:           8
        .value_kind:     global_buffer
      - .offset:         40
        .size:           8
        .value_kind:     by_value
      - .actual_access:  read_only
        .address_space:  global
        .offset:         48
        .size:           8
        .value_kind:     global_buffer
      - .actual_access:  read_only
        .address_space:  global
        .offset:         56
        .size:           8
        .value_kind:     global_buffer
      - .offset:         64
        .size:           4
        .value_kind:     by_value
      - .actual_access:  read_only
        .address_space:  global
        .offset:         72
        .size:           8
        .value_kind:     global_buffer
      - .actual_access:  read_only
        .address_space:  global
        .offset:         80
        .size:           8
        .value_kind:     global_buffer
      - .actual_access:  read_only
        .address_space:  global
        .offset:         88
        .size:           8
        .value_kind:     global_buffer
      - .actual_access:  write_only
        .address_space:  global
        .offset:         96
        .size:           8
        .value_kind:     global_buffer
    .group_segment_fixed_size: 0
    .kernarg_segment_align: 8
    .kernarg_segment_size: 104
    .language:       OpenCL C
    .language_version:
      - 2
      - 0
    .max_flat_workgroup_size: 245
    .name:           fft_rtc_back_len1715_factors_5_7_7_7_wgs_245_tpt_245_halfLds_dp_op_CI_CI_unitstride_sbrr_dirReg
    .private_segment_fixed_size: 0
    .sgpr_count:     29
    .sgpr_spill_count: 0
    .symbol:         fft_rtc_back_len1715_factors_5_7_7_7_wgs_245_tpt_245_halfLds_dp_op_CI_CI_unitstride_sbrr_dirReg.kd
    .uniform_work_group_size: 1
    .uses_dynamic_stack: false
    .vgpr_count:     77
    .vgpr_spill_count: 0
    .wavefront_size: 32
    .workgroup_processor_mode: 1
amdhsa.target:   amdgcn-amd-amdhsa--gfx1100
amdhsa.version:
  - 1
  - 2
...

	.end_amdgpu_metadata
